;; amdgpu-corpus repo=ROCm/rocFFT kind=compiled arch=gfx1201 opt=O3
	.text
	.amdgcn_target "amdgcn-amd-amdhsa--gfx1201"
	.amdhsa_code_object_version 6
	.protected	fft_rtc_fwd_len504_factors_7_9_4_2_wgs_63_tpt_63_sp_op_CI_CI_unitstride_sbrr_dirReg ; -- Begin function fft_rtc_fwd_len504_factors_7_9_4_2_wgs_63_tpt_63_sp_op_CI_CI_unitstride_sbrr_dirReg
	.globl	fft_rtc_fwd_len504_factors_7_9_4_2_wgs_63_tpt_63_sp_op_CI_CI_unitstride_sbrr_dirReg
	.p2align	8
	.type	fft_rtc_fwd_len504_factors_7_9_4_2_wgs_63_tpt_63_sp_op_CI_CI_unitstride_sbrr_dirReg,@function
fft_rtc_fwd_len504_factors_7_9_4_2_wgs_63_tpt_63_sp_op_CI_CI_unitstride_sbrr_dirReg: ; @fft_rtc_fwd_len504_factors_7_9_4_2_wgs_63_tpt_63_sp_op_CI_CI_unitstride_sbrr_dirReg
; %bb.0:
	s_clause 0x2
	s_load_b128 s[8:11], s[0:1], 0x0
	s_load_b128 s[4:7], s[0:1], 0x58
	;; [unrolled: 1-line block ×3, first 2 shown]
	v_mul_u32_u24_e32 v1, 0x411, v0
	v_mov_b32_e32 v3, 0
	s_delay_alu instid0(VALU_DEP_2) | instskip(NEXT) | instid1(VALU_DEP_1)
	v_lshrrev_b32_e32 v1, 16, v1
	v_add_nc_u32_e32 v5, ttmp9, v1
	v_mov_b32_e32 v1, 0
	v_mov_b32_e32 v2, 0
	;; [unrolled: 1-line block ×3, first 2 shown]
	s_wait_kmcnt 0x0
	v_cmp_lt_u64_e64 s2, s[10:11], 2
	s_delay_alu instid0(VALU_DEP_1)
	s_and_b32 vcc_lo, exec_lo, s2
	s_cbranch_vccnz .LBB0_8
; %bb.1:
	s_load_b64 s[2:3], s[0:1], 0x10
	v_mov_b32_e32 v1, 0
	v_mov_b32_e32 v2, 0
	s_add_nc_u64 s[16:17], s[14:15], 8
	s_add_nc_u64 s[18:19], s[12:13], 8
	s_mov_b64 s[20:21], 1
	s_delay_alu instid0(VALU_DEP_1)
	v_dual_mov_b32 v17, v2 :: v_dual_mov_b32 v16, v1
	s_wait_kmcnt 0x0
	s_add_nc_u64 s[22:23], s[2:3], 8
	s_mov_b32 s3, 0
.LBB0_2:                                ; =>This Inner Loop Header: Depth=1
	s_load_b64 s[24:25], s[22:23], 0x0
                                        ; implicit-def: $vgpr18_vgpr19
	s_mov_b32 s2, exec_lo
	s_wait_kmcnt 0x0
	v_or_b32_e32 v4, s25, v6
	s_delay_alu instid0(VALU_DEP_1)
	v_cmpx_ne_u64_e32 0, v[3:4]
	s_wait_alu 0xfffe
	s_xor_b32 s26, exec_lo, s2
	s_cbranch_execz .LBB0_4
; %bb.3:                                ;   in Loop: Header=BB0_2 Depth=1
	s_cvt_f32_u32 s2, s24
	s_cvt_f32_u32 s27, s25
	s_sub_nc_u64 s[30:31], 0, s[24:25]
	s_wait_alu 0xfffe
	s_delay_alu instid0(SALU_CYCLE_1) | instskip(SKIP_1) | instid1(SALU_CYCLE_2)
	s_fmamk_f32 s2, s27, 0x4f800000, s2
	s_wait_alu 0xfffe
	v_s_rcp_f32 s2, s2
	s_delay_alu instid0(TRANS32_DEP_1) | instskip(SKIP_1) | instid1(SALU_CYCLE_2)
	s_mul_f32 s2, s2, 0x5f7ffffc
	s_wait_alu 0xfffe
	s_mul_f32 s27, s2, 0x2f800000
	s_wait_alu 0xfffe
	s_delay_alu instid0(SALU_CYCLE_2) | instskip(SKIP_1) | instid1(SALU_CYCLE_2)
	s_trunc_f32 s27, s27
	s_wait_alu 0xfffe
	s_fmamk_f32 s2, s27, 0xcf800000, s2
	s_cvt_u32_f32 s29, s27
	s_wait_alu 0xfffe
	s_delay_alu instid0(SALU_CYCLE_1) | instskip(SKIP_1) | instid1(SALU_CYCLE_2)
	s_cvt_u32_f32 s28, s2
	s_wait_alu 0xfffe
	s_mul_u64 s[34:35], s[30:31], s[28:29]
	s_wait_alu 0xfffe
	s_mul_hi_u32 s37, s28, s35
	s_mul_i32 s36, s28, s35
	s_mul_hi_u32 s2, s28, s34
	s_mul_i32 s33, s29, s34
	s_wait_alu 0xfffe
	s_add_nc_u64 s[36:37], s[2:3], s[36:37]
	s_mul_hi_u32 s27, s29, s34
	s_mul_hi_u32 s38, s29, s35
	s_add_co_u32 s2, s36, s33
	s_wait_alu 0xfffe
	s_add_co_ci_u32 s2, s37, s27
	s_mul_i32 s34, s29, s35
	s_add_co_ci_u32 s35, s38, 0
	s_wait_alu 0xfffe
	s_add_nc_u64 s[34:35], s[2:3], s[34:35]
	s_wait_alu 0xfffe
	v_add_co_u32 v4, s2, s28, s34
	s_delay_alu instid0(VALU_DEP_1) | instskip(SKIP_1) | instid1(VALU_DEP_1)
	s_cmp_lg_u32 s2, 0
	s_add_co_ci_u32 s29, s29, s35
	v_readfirstlane_b32 s28, v4
	s_wait_alu 0xfffe
	s_delay_alu instid0(VALU_DEP_1)
	s_mul_u64 s[30:31], s[30:31], s[28:29]
	s_wait_alu 0xfffe
	s_mul_hi_u32 s35, s28, s31
	s_mul_i32 s34, s28, s31
	s_mul_hi_u32 s2, s28, s30
	s_mul_i32 s33, s29, s30
	s_wait_alu 0xfffe
	s_add_nc_u64 s[34:35], s[2:3], s[34:35]
	s_mul_hi_u32 s27, s29, s30
	s_mul_hi_u32 s28, s29, s31
	s_wait_alu 0xfffe
	s_add_co_u32 s2, s34, s33
	s_add_co_ci_u32 s2, s35, s27
	s_mul_i32 s30, s29, s31
	s_add_co_ci_u32 s31, s28, 0
	s_wait_alu 0xfffe
	s_add_nc_u64 s[30:31], s[2:3], s[30:31]
	s_wait_alu 0xfffe
	v_add_co_u32 v4, s2, v4, s30
	s_delay_alu instid0(VALU_DEP_1) | instskip(SKIP_1) | instid1(VALU_DEP_1)
	s_cmp_lg_u32 s2, 0
	s_add_co_ci_u32 s2, s29, s31
	v_mul_hi_u32 v13, v5, v4
	s_wait_alu 0xfffe
	v_mad_co_u64_u32 v[7:8], null, v5, s2, 0
	v_mad_co_u64_u32 v[9:10], null, v6, v4, 0
	;; [unrolled: 1-line block ×3, first 2 shown]
	s_delay_alu instid0(VALU_DEP_3) | instskip(SKIP_1) | instid1(VALU_DEP_4)
	v_add_co_u32 v4, vcc_lo, v13, v7
	s_wait_alu 0xfffd
	v_add_co_ci_u32_e32 v7, vcc_lo, 0, v8, vcc_lo
	s_delay_alu instid0(VALU_DEP_2) | instskip(SKIP_1) | instid1(VALU_DEP_2)
	v_add_co_u32 v4, vcc_lo, v4, v9
	s_wait_alu 0xfffd
	v_add_co_ci_u32_e32 v4, vcc_lo, v7, v10, vcc_lo
	s_wait_alu 0xfffd
	v_add_co_ci_u32_e32 v7, vcc_lo, 0, v12, vcc_lo
	s_delay_alu instid0(VALU_DEP_2) | instskip(SKIP_1) | instid1(VALU_DEP_2)
	v_add_co_u32 v4, vcc_lo, v4, v11
	s_wait_alu 0xfffd
	v_add_co_ci_u32_e32 v9, vcc_lo, 0, v7, vcc_lo
	s_delay_alu instid0(VALU_DEP_2) | instskip(SKIP_1) | instid1(VALU_DEP_3)
	v_mul_lo_u32 v10, s25, v4
	v_mad_co_u64_u32 v[7:8], null, s24, v4, 0
	v_mul_lo_u32 v11, s24, v9
	s_delay_alu instid0(VALU_DEP_2) | instskip(NEXT) | instid1(VALU_DEP_2)
	v_sub_co_u32 v7, vcc_lo, v5, v7
	v_add3_u32 v8, v8, v11, v10
	s_delay_alu instid0(VALU_DEP_1) | instskip(SKIP_1) | instid1(VALU_DEP_1)
	v_sub_nc_u32_e32 v10, v6, v8
	s_wait_alu 0xfffd
	v_subrev_co_ci_u32_e64 v10, s2, s25, v10, vcc_lo
	v_add_co_u32 v11, s2, v4, 2
	s_wait_alu 0xf1ff
	v_add_co_ci_u32_e64 v12, s2, 0, v9, s2
	v_sub_co_u32 v13, s2, v7, s24
	v_sub_co_ci_u32_e32 v8, vcc_lo, v6, v8, vcc_lo
	s_wait_alu 0xf1ff
	v_subrev_co_ci_u32_e64 v10, s2, 0, v10, s2
	s_delay_alu instid0(VALU_DEP_3) | instskip(NEXT) | instid1(VALU_DEP_3)
	v_cmp_le_u32_e32 vcc_lo, s24, v13
	v_cmp_eq_u32_e64 s2, s25, v8
	s_wait_alu 0xfffd
	v_cndmask_b32_e64 v13, 0, -1, vcc_lo
	v_cmp_le_u32_e32 vcc_lo, s25, v10
	s_wait_alu 0xfffd
	v_cndmask_b32_e64 v14, 0, -1, vcc_lo
	v_cmp_le_u32_e32 vcc_lo, s24, v7
	;; [unrolled: 3-line block ×3, first 2 shown]
	s_wait_alu 0xfffd
	v_cndmask_b32_e64 v15, 0, -1, vcc_lo
	v_cmp_eq_u32_e32 vcc_lo, s25, v10
	s_wait_alu 0xf1ff
	s_delay_alu instid0(VALU_DEP_2)
	v_cndmask_b32_e64 v7, v15, v7, s2
	s_wait_alu 0xfffd
	v_cndmask_b32_e32 v10, v14, v13, vcc_lo
	v_add_co_u32 v13, vcc_lo, v4, 1
	s_wait_alu 0xfffd
	v_add_co_ci_u32_e32 v14, vcc_lo, 0, v9, vcc_lo
	s_delay_alu instid0(VALU_DEP_3) | instskip(SKIP_1) | instid1(VALU_DEP_2)
	v_cmp_ne_u32_e32 vcc_lo, 0, v10
	s_wait_alu 0xfffd
	v_cndmask_b32_e32 v8, v14, v12, vcc_lo
	v_cndmask_b32_e32 v10, v13, v11, vcc_lo
	v_cmp_ne_u32_e32 vcc_lo, 0, v7
	s_wait_alu 0xfffd
	s_delay_alu instid0(VALU_DEP_2)
	v_dual_cndmask_b32 v19, v9, v8 :: v_dual_cndmask_b32 v18, v4, v10
.LBB0_4:                                ;   in Loop: Header=BB0_2 Depth=1
	s_wait_alu 0xfffe
	s_and_not1_saveexec_b32 s2, s26
	s_cbranch_execz .LBB0_6
; %bb.5:                                ;   in Loop: Header=BB0_2 Depth=1
	v_cvt_f32_u32_e32 v4, s24
	s_sub_co_i32 s26, 0, s24
	v_mov_b32_e32 v19, v3
	s_delay_alu instid0(VALU_DEP_2) | instskip(NEXT) | instid1(TRANS32_DEP_1)
	v_rcp_iflag_f32_e32 v4, v4
	v_mul_f32_e32 v4, 0x4f7ffffe, v4
	s_delay_alu instid0(VALU_DEP_1) | instskip(SKIP_1) | instid1(VALU_DEP_1)
	v_cvt_u32_f32_e32 v4, v4
	s_wait_alu 0xfffe
	v_mul_lo_u32 v7, s26, v4
	s_delay_alu instid0(VALU_DEP_1) | instskip(NEXT) | instid1(VALU_DEP_1)
	v_mul_hi_u32 v7, v4, v7
	v_add_nc_u32_e32 v4, v4, v7
	s_delay_alu instid0(VALU_DEP_1) | instskip(NEXT) | instid1(VALU_DEP_1)
	v_mul_hi_u32 v4, v5, v4
	v_mul_lo_u32 v7, v4, s24
	v_add_nc_u32_e32 v8, 1, v4
	s_delay_alu instid0(VALU_DEP_2) | instskip(NEXT) | instid1(VALU_DEP_1)
	v_sub_nc_u32_e32 v7, v5, v7
	v_subrev_nc_u32_e32 v9, s24, v7
	v_cmp_le_u32_e32 vcc_lo, s24, v7
	s_wait_alu 0xfffd
	s_delay_alu instid0(VALU_DEP_2) | instskip(NEXT) | instid1(VALU_DEP_1)
	v_dual_cndmask_b32 v7, v7, v9 :: v_dual_cndmask_b32 v4, v4, v8
	v_cmp_le_u32_e32 vcc_lo, s24, v7
	s_delay_alu instid0(VALU_DEP_2) | instskip(SKIP_1) | instid1(VALU_DEP_1)
	v_add_nc_u32_e32 v8, 1, v4
	s_wait_alu 0xfffd
	v_cndmask_b32_e32 v18, v4, v8, vcc_lo
.LBB0_6:                                ;   in Loop: Header=BB0_2 Depth=1
	s_wait_alu 0xfffe
	s_or_b32 exec_lo, exec_lo, s2
	v_mul_lo_u32 v4, v19, s24
	s_delay_alu instid0(VALU_DEP_2)
	v_mul_lo_u32 v9, v18, s25
	s_load_b64 s[26:27], s[18:19], 0x0
	v_mad_co_u64_u32 v[7:8], null, v18, s24, 0
	s_load_b64 s[24:25], s[16:17], 0x0
	s_add_nc_u64 s[20:21], s[20:21], 1
	s_add_nc_u64 s[16:17], s[16:17], 8
	s_wait_alu 0xfffe
	v_cmp_ge_u64_e64 s2, s[20:21], s[10:11]
	s_add_nc_u64 s[18:19], s[18:19], 8
	s_add_nc_u64 s[22:23], s[22:23], 8
	v_add3_u32 v4, v8, v9, v4
	v_sub_co_u32 v5, vcc_lo, v5, v7
	s_wait_alu 0xfffd
	s_delay_alu instid0(VALU_DEP_2) | instskip(SKIP_2) | instid1(VALU_DEP_1)
	v_sub_co_ci_u32_e32 v4, vcc_lo, v6, v4, vcc_lo
	s_and_b32 vcc_lo, exec_lo, s2
	s_wait_kmcnt 0x0
	v_mul_lo_u32 v6, s26, v4
	v_mul_lo_u32 v7, s27, v5
	v_mad_co_u64_u32 v[1:2], null, s26, v5, v[1:2]
	v_mul_lo_u32 v4, s24, v4
	v_mul_lo_u32 v8, s25, v5
	v_mad_co_u64_u32 v[16:17], null, s24, v5, v[16:17]
	s_delay_alu instid0(VALU_DEP_4) | instskip(NEXT) | instid1(VALU_DEP_2)
	v_add3_u32 v2, v7, v2, v6
	v_add3_u32 v17, v8, v17, v4
	s_wait_alu 0xfffe
	s_cbranch_vccnz .LBB0_9
; %bb.7:                                ;   in Loop: Header=BB0_2 Depth=1
	v_dual_mov_b32 v5, v18 :: v_dual_mov_b32 v6, v19
	s_branch .LBB0_2
.LBB0_8:
	v_dual_mov_b32 v17, v2 :: v_dual_mov_b32 v16, v1
	v_dual_mov_b32 v19, v6 :: v_dual_mov_b32 v18, v5
.LBB0_9:
	s_load_b64 s[0:1], s[0:1], 0x28
	v_mul_hi_u32 v3, 0x4104105, v0
	s_lshl_b64 s[10:11], s[10:11], 3
                                        ; implicit-def: $vgpr20
                                        ; implicit-def: $vgpr22
	s_wait_kmcnt 0x0
	v_cmp_gt_u64_e32 vcc_lo, s[0:1], v[18:19]
	v_cmp_le_u64_e64 s0, s[0:1], v[18:19]
	s_delay_alu instid0(VALU_DEP_1)
	s_and_saveexec_b32 s1, s0
	s_wait_alu 0xfffe
	s_xor_b32 s0, exec_lo, s1
; %bb.10:
	v_mul_u32_u24_e32 v1, 63, v3
                                        ; implicit-def: $vgpr3
	s_delay_alu instid0(VALU_DEP_1) | instskip(NEXT) | instid1(VALU_DEP_1)
	v_sub_nc_u32_e32 v20, v0, v1
                                        ; implicit-def: $vgpr0
                                        ; implicit-def: $vgpr1_vgpr2
	v_add_nc_u32_e32 v22, 63, v20
; %bb.11:
	s_wait_alu 0xfffe
	s_or_saveexec_b32 s1, s0
	s_add_nc_u64 s[2:3], s[14:15], s[10:11]
	s_wait_alu 0xfffe
	s_xor_b32 exec_lo, exec_lo, s1
	s_cbranch_execz .LBB0_13
; %bb.12:
	s_add_nc_u64 s[10:11], s[12:13], s[10:11]
	v_lshlrev_b64_e32 v[1:2], 3, v[1:2]
	s_load_b64 s[10:11], s[10:11], 0x0
	s_wait_kmcnt 0x0
	v_mul_lo_u32 v6, s11, v18
	v_mul_lo_u32 v7, s10, v19
	v_mad_co_u64_u32 v[4:5], null, s10, v18, 0
	s_delay_alu instid0(VALU_DEP_1) | instskip(SKIP_1) | instid1(VALU_DEP_2)
	v_add3_u32 v5, v5, v7, v6
	v_mul_u32_u24_e32 v6, 63, v3
	v_lshlrev_b64_e32 v[3:4], 3, v[4:5]
	s_delay_alu instid0(VALU_DEP_2) | instskip(NEXT) | instid1(VALU_DEP_1)
	v_sub_nc_u32_e32 v20, v0, v6
	v_lshlrev_b32_e32 v21, 3, v20
	s_delay_alu instid0(VALU_DEP_3) | instskip(SKIP_1) | instid1(VALU_DEP_4)
	v_add_co_u32 v0, s0, s4, v3
	s_wait_alu 0xf1ff
	v_add_co_ci_u32_e64 v3, s0, s5, v4, s0
	v_add_nc_u32_e32 v22, 63, v20
	s_delay_alu instid0(VALU_DEP_3) | instskip(SKIP_1) | instid1(VALU_DEP_3)
	v_add_co_u32 v0, s0, v0, v1
	s_wait_alu 0xf1ff
	v_add_co_ci_u32_e64 v1, s0, v3, v2, s0
	s_delay_alu instid0(VALU_DEP_2) | instskip(SKIP_1) | instid1(VALU_DEP_2)
	v_add_co_u32 v0, s0, v0, v21
	s_wait_alu 0xf1ff
	v_add_co_ci_u32_e64 v1, s0, 0, v1, s0
	s_clause 0x7
	global_load_b64 v[2:3], v[0:1], off
	global_load_b64 v[4:5], v[0:1], off offset:504
	global_load_b64 v[6:7], v[0:1], off offset:1008
	;; [unrolled: 1-line block ×7, first 2 shown]
	v_add_nc_u32_e32 v21, 0, v21
	s_delay_alu instid0(VALU_DEP_1)
	v_add_nc_u32_e32 v23, 0x400, v21
	v_add_nc_u32_e32 v24, 0x800, v21
	s_wait_loadcnt 0x6
	ds_store_2addr_b64 v21, v[2:3], v[4:5] offset1:63
	s_wait_loadcnt 0x4
	ds_store_2addr_b64 v21, v[6:7], v[8:9] offset0:126 offset1:189
	s_wait_loadcnt 0x2
	ds_store_2addr_b64 v23, v[10:11], v[12:13] offset0:124 offset1:187
	;; [unrolled: 2-line block ×3, first 2 shown]
.LBB0_13:
	s_or_b32 exec_lo, exec_lo, s1
	v_lshl_add_u32 v25, v20, 3, 0
	s_load_b64 s[2:3], s[2:3], 0x0
	global_wb scope:SCOPE_SE
	s_wait_dscnt 0x0
	s_wait_kmcnt 0x0
	s_barrier_signal -1
	s_barrier_wait -1
	v_add_nc_u32_e32 v0, 0x800, v25
	global_inv scope:SCOPE_SE
	s_mov_b32 s1, exec_lo
	ds_load_2addr_b64 v[8:11], v25 offset0:72 offset1:135
	ds_load_2addr_b64 v[12:15], v0 offset0:176 offset1:239
	v_add_nc_u32_e32 v1, 0x400, v25
	ds_load_2addr_b64 v[26:29], v25 offset0:144 offset1:207
	ds_load_2addr_b64 v[35:38], v0 offset0:104 offset1:167
	;; [unrolled: 1-line block ×4, first 2 shown]
	ds_load_2addr_b64 v[48:51], v25 offset1:63
	global_wb scope:SCOPE_SE
	s_wait_dscnt 0x0
	s_barrier_signal -1
	s_barrier_wait -1
	global_inv scope:SCOPE_SE
	v_dual_add_f32 v0, v8, v12 :: v_dual_add_f32 v1, v9, v13
	v_dual_sub_f32 v2, v8, v12 :: v_dual_sub_f32 v3, v9, v13
	v_dual_add_f32 v4, v26, v35 :: v_dual_add_f32 v5, v27, v36
	v_dual_sub_f32 v6, v26, v35 :: v_dual_sub_f32 v7, v27, v36
	;; [unrolled: 2-line block ×3, first 2 shown]
	s_delay_alu instid0(VALU_DEP_4) | instskip(SKIP_1) | instid1(VALU_DEP_4)
	v_dual_add_f32 v21, v4, v0 :: v_dual_sub_f32 v26, v5, v1
	v_dual_add_f32 v23, v5, v1 :: v_dual_sub_f32 v24, v4, v0
	v_dual_sub_f32 v27, v0, v8 :: v_dual_sub_f32 v30, v1, v9
	v_dual_sub_f32 v4, v8, v4 :: v_dual_sub_f32 v5, v9, v5
	v_dual_add_f32 v0, v12, v6 :: v_dual_add_f32 v1, v13, v7
	v_dual_sub_f32 v31, v12, v6 :: v_dual_sub_f32 v32, v13, v7
	v_dual_sub_f32 v6, v6, v2 :: v_dual_add_f32 v9, v9, v23
	v_dual_add_f32 v8, v8, v21 :: v_dual_sub_f32 v7, v7, v3
	v_dual_sub_f32 v12, v2, v12 :: v_dual_sub_f32 v13, v3, v13
	v_dual_add_f32 v2, v0, v2 :: v_dual_add_f32 v3, v1, v3
	s_delay_alu instid0(VALU_DEP_3) | instskip(SKIP_2) | instid1(VALU_DEP_3)
	v_dual_add_f32 v0, v48, v8 :: v_dual_add_f32 v1, v49, v9
	v_dual_mul_f32 v31, 0xbf08b237, v31 :: v_dual_mul_f32 v32, 0xbf08b237, v32
	v_dual_mul_f32 v33, 0x3f5ff5aa, v6 :: v_dual_mul_f32 v34, 0x3f5ff5aa, v7
	v_dual_fmamk_f32 v8, v8, 0xbf955555, v0 :: v_dual_fmamk_f32 v9, v9, 0xbf955555, v1
	v_mul_f32_e32 v23, 0x3f4a47b2, v30
	v_dual_mul_f32 v30, 0x3d64c772, v5 :: v_dual_add_f32 v35, v29, v38
	s_delay_alu instid0(VALU_DEP_1) | instskip(NEXT) | instid1(VALU_DEP_1)
	v_fma_f32 v30, 0x3f3bfb3b, v26, -v30
	v_dual_add_f32 v30, v30, v9 :: v_dual_fmamk_f32 v5, v5, 0x3d64c772, v23
	v_mul_f32_e32 v21, 0x3f4a47b2, v27
	v_fma_f32 v23, 0xbf3bfb3b, v26, -v23
	v_fma_f32 v26, 0x3f5ff5aa, v6, -v31
	s_delay_alu instid0(VALU_DEP_4) | instskip(NEXT) | instid1(VALU_DEP_4)
	v_dual_add_f32 v54, v5, v9 :: v_dual_mul_f32 v27, 0x3d64c772, v4
	v_fmamk_f32 v4, v4, 0x3d64c772, v21
	v_fma_f32 v21, 0xbf3bfb3b, v24, -v21
	v_fmamk_f32 v52, v13, 0x3eae86e6, v32
	v_fma_f32 v13, 0xbeae86e6, v13, -v34
	v_fma_f32 v27, 0x3f3bfb3b, v24, -v27
	v_add_f32_e32 v53, v4, v8
	v_fmamk_f32 v24, v12, 0x3eae86e6, v31
	v_fma_f32 v31, 0x3f5ff5aa, v7, -v32
	v_fma_f32 v12, 0xbeae86e6, v12, -v33
	v_add_f32_e32 v27, v27, v8
	v_dual_add_f32 v23, v23, v9 :: v_dual_fmac_f32 v52, 0x3ee1c552, v3
	v_dual_fmac_f32 v26, 0x3ee1c552, v2 :: v_dual_fmac_f32 v13, 0x3ee1c552, v3
	s_delay_alu instid0(VALU_DEP_4) | instskip(SKIP_1) | instid1(VALU_DEP_3)
	v_dual_fmac_f32 v12, 0x3ee1c552, v2 :: v_dual_fmac_f32 v31, 0x3ee1c552, v3
	v_dual_add_f32 v21, v21, v8 :: v_dual_fmac_f32 v24, 0x3ee1c552, v2
	v_dual_add_f32 v2, v53, v52 :: v_dual_add_f32 v7, v26, v30
	s_delay_alu instid0(VALU_DEP_3)
	v_dual_sub_f32 v6, v27, v31 :: v_dual_sub_f32 v9, v30, v26
	v_dual_add_f32 v8, v31, v27 :: v_dual_add_f32 v27, v10, v14
	v_add_f32_e32 v32, v11, v15
	v_dual_add_f32 v30, v28, v37 :: v_dual_sub_f32 v5, v23, v12
	v_sub_f32_e32 v34, v10, v14
	v_dual_sub_f32 v26, v11, v15 :: v_dual_sub_f32 v37, v28, v37
	v_dual_add_f32 v10, v41, v45 :: v_dual_sub_f32 v15, v46, v42
	v_add_f32_e32 v11, v42, v46
	v_dual_sub_f32 v28, v29, v38 :: v_dual_add_f32 v29, v30, v27
	v_dual_sub_f32 v14, v45, v41 :: v_dual_add_f32 v31, v35, v32
	s_delay_alu instid0(VALU_DEP_3) | instskip(SKIP_1) | instid1(VALU_DEP_3)
	v_dual_sub_f32 v33, v27, v10 :: v_dual_sub_f32 v36, v32, v11
	v_dual_sub_f32 v44, v10, v30 :: v_dual_sub_f32 v45, v11, v35
	v_dual_add_f32 v40, v14, v37 :: v_dual_add_f32 v41, v15, v28
	s_delay_alu instid0(VALU_DEP_3) | instskip(SKIP_1) | instid1(VALU_DEP_3)
	v_dual_sub_f32 v43, v34, v14 :: v_dual_mul_f32 v42, 0x3f4a47b2, v36
	v_dual_add_f32 v10, v10, v29 :: v_dual_add_f32 v11, v11, v31
	v_dual_sub_f32 v29, v26, v15 :: v_dual_add_f32 v48, v40, v34
	v_dual_sub_f32 v38, v14, v37 :: v_dual_sub_f32 v39, v15, v28
	s_delay_alu instid0(VALU_DEP_2) | instskip(NEXT) | instid1(VALU_DEP_4)
	v_dual_add_f32 v49, v41, v26 :: v_dual_mul_f32 v40, 0x3eae86e6, v29
	v_dual_add_f32 v14, v50, v10 :: v_dual_add_f32 v15, v51, v11
	v_mul_f32_e32 v43, 0x3eae86e6, v43
	v_mul_f32_e32 v41, 0x3f4a47b2, v33
	v_fmamk_f32 v47, v45, 0x3d64c772, v42
	s_delay_alu instid0(VALU_DEP_4) | instskip(SKIP_3) | instid1(VALU_DEP_4)
	v_dual_fmamk_f32 v33, v10, 0xbf955555, v14 :: v_dual_fmamk_f32 v36, v11, 0xbf955555, v15
	v_dual_sub_f32 v10, v21, v13 :: v_dual_fmamk_f32 v29, v39, 0xbf08b237, v40
	v_fmamk_f32 v46, v38, 0xbf08b237, v43
	v_dual_sub_f32 v3, v54, v24 :: v_dual_add_f32 v4, v13, v21
	v_add_f32_e32 v47, v47, v36
	s_delay_alu instid0(VALU_DEP_3) | instskip(SKIP_3) | instid1(VALU_DEP_4)
	v_dual_fmac_f32 v29, 0x3ee1c552, v49 :: v_dual_fmac_f32 v46, 0x3ee1c552, v48
	v_fmamk_f32 v11, v44, 0x3d64c772, v41
	v_add_f32_e32 v13, v24, v54
	v_mad_u32_u24 v21, v20, 48, v25
	v_sub_f32_e32 v24, v47, v46
	s_delay_alu instid0(VALU_DEP_4)
	v_add_f32_e32 v31, v11, v33
	v_dual_add_f32 v11, v12, v23 :: v_dual_sub_f32 v12, v53, v52
	ds_store_2addr_b64 v21, v[0:1], v[2:3] offset1:1
	ds_store_2addr_b64 v21, v[4:5], v[6:7] offset0:2 offset1:3
	ds_store_2addr_b64 v21, v[8:9], v[10:11] offset0:4 offset1:5
	ds_store_b64 v21, v[12:13] offset:48
	v_add_f32_e32 v23, v31, v29
	v_cmpx_gt_u32_e32 9, v20
	s_cbranch_execz .LBB0_15
; %bb.14:
	v_dual_mul_f32 v44, 0x3d64c772, v44 :: v_dual_mul_f32 v45, 0x3d64c772, v45
	v_dual_sub_f32 v34, v37, v34 :: v_dual_mul_f32 v37, 0xbf08b237, v39
	v_dual_sub_f32 v32, v35, v32 :: v_dual_mul_f32 v35, 0xbf08b237, v38
	v_sub_f32_e32 v30, v30, v27
	v_dual_mul_f32 v48, 0x3ee1c552, v48 :: v_dual_mul_f32 v49, 0x3ee1c552, v49
	s_delay_alu instid0(VALU_DEP_4) | instskip(NEXT) | instid1(VALU_DEP_4)
	v_fma_f32 v38, 0xbf5ff5aa, v34, -v43
	v_fma_f32 v39, 0xbf3bfb3b, v32, -v42
	s_delay_alu instid0(VALU_DEP_4) | instskip(SKIP_3) | instid1(VALU_DEP_4)
	v_fma_f32 v41, 0xbf3bfb3b, v30, -v41
	v_dual_sub_f32 v26, v28, v26 :: v_dual_add_f32 v27, v46, v47
	v_fma_f32 v32, 0x3f3bfb3b, v32, -v45
	v_fma_f32 v34, 0x3f5ff5aa, v34, -v35
	v_add_f32_e32 v41, v41, v33
	v_fma_f32 v30, 0x3f3bfb3b, v30, -v44
	s_delay_alu instid0(VALU_DEP_3)
	v_add_f32_e32 v34, v48, v34
	v_add_f32_e32 v28, v48, v38
	;; [unrolled: 1-line block ×3, first 2 shown]
	v_fma_f32 v39, 0xbf5ff5aa, v26, -v40
	v_fma_f32 v26, 0x3f5ff5aa, v26, -v37
	v_add_f32_e32 v36, v32, v36
	v_add_f32_e32 v30, v30, v33
	s_delay_alu instid0(VALU_DEP_3) | instskip(NEXT) | instid1(VALU_DEP_3)
	v_add_f32_e32 v26, v49, v26
	v_sub_f32_e32 v35, v36, v34
	v_dual_add_f32 v37, v34, v36 :: v_dual_add_f32 v40, v49, v39
	v_add_f32_e32 v33, v28, v38
	v_sub_f32_e32 v39, v38, v28
	v_mad_i32_i24 v28, v22, 56, 0
	v_sub_f32_e32 v36, v30, v26
	v_add_f32_e32 v38, v40, v41
	v_sub_f32_e32 v32, v41, v40
	v_add_f32_e32 v34, v26, v30
	v_sub_f32_e32 v26, v31, v29
	ds_store_2addr_b64 v28, v[14:15], v[23:24] offset1:1
	ds_store_2addr_b64 v28, v[38:39], v[36:37] offset0:2 offset1:3
	ds_store_2addr_b64 v28, v[34:35], v[32:33] offset0:4 offset1:5
	ds_store_b64 v28, v[26:27] offset:48
.LBB0_15:
	s_wait_alu 0xfffe
	s_or_b32 exec_lo, exec_lo, s1
	v_cmp_gt_u32_e64 s0, 56, v20
	global_wb scope:SCOPE_SE
	s_wait_dscnt 0x0
	s_barrier_signal -1
	s_barrier_wait -1
	global_inv scope:SCOPE_SE
	s_and_saveexec_b32 s1, s0
	s_cbranch_execz .LBB0_17
; %bb.16:
	v_add_nc_u32_e32 v0, 0x800, v25
	v_add_nc_u32_e32 v8, 0x400, v25
	v_mad_i32_i24 v21, 0xffffffd0, v20, v21
	ds_load_2addr_b64 v[12:15], v0 offset0:80 offset1:136
	ds_load_2addr_b64 v[0:3], v25 offset1:56
	ds_load_2addr_b64 v[4:7], v25 offset0:112 offset1:168
	ds_load_2addr_b64 v[8:11], v8 offset0:96 offset1:152
	ds_load_b64 v[23:24], v21 offset:3584
.LBB0_17:
	s_wait_alu 0xfffe
	s_or_b32 exec_lo, exec_lo, s1
	global_wb scope:SCOPE_SE
	s_wait_dscnt 0x0
	s_barrier_signal -1
	s_barrier_wait -1
	global_inv scope:SCOPE_SE
	s_and_saveexec_b32 s1, s0
	s_cbranch_execz .LBB0_19
; %bb.18:
	v_and_b32_e32 v21, 0xff, v20
	s_delay_alu instid0(VALU_DEP_1) | instskip(NEXT) | instid1(VALU_DEP_1)
	v_mul_lo_u16 v21, v21, 37
	v_lshrrev_b16 v21, 8, v21
	s_delay_alu instid0(VALU_DEP_1) | instskip(NEXT) | instid1(VALU_DEP_1)
	v_sub_nc_u16 v26, v20, v21
	v_lshrrev_b16 v26, 1, v26
	s_delay_alu instid0(VALU_DEP_1) | instskip(NEXT) | instid1(VALU_DEP_1)
	v_and_b32_e32 v26, 0x7f, v26
	v_add_nc_u16 v21, v26, v21
	s_delay_alu instid0(VALU_DEP_1) | instskip(NEXT) | instid1(VALU_DEP_1)
	v_lshrrev_b16 v21, 2, v21
	v_mul_lo_u16 v26, v21, 7
	s_delay_alu instid0(VALU_DEP_1) | instskip(NEXT) | instid1(VALU_DEP_1)
	v_sub_nc_u16 v26, v20, v26
	v_and_b32_e32 v42, 0xff, v26
	s_delay_alu instid0(VALU_DEP_1)
	v_lshlrev_b32_e32 v38, 6, v42
	s_clause 0x3
	global_load_b128 v[26:29], v38, s[8:9]
	global_load_b128 v[30:33], v38, s[8:9] offset:48
	global_load_b128 v[34:37], v38, s[8:9] offset:16
	;; [unrolled: 1-line block ×3, first 2 shown]
	v_and_b32_e32 v21, 0xffff, v21
	s_wait_loadcnt 0x2
	v_dual_mul_f32 v46, v5, v29 :: v_dual_mul_f32 v47, v15, v31
	s_wait_loadcnt 0x1
	v_mul_f32_e32 v44, v7, v35
	v_mul_u32_u24_e32 v21, 0x1f8, v21
	s_wait_loadcnt 0x0
	v_dual_mul_f32 v45, v13, v41 :: v_dual_lshlrev_b32 v42, 3, v42
	v_mul_f32_e32 v49, v11, v39
	v_mul_f32_e32 v43, v24, v33
	v_dual_mul_f32 v48, v9, v37 :: v_dual_mul_f32 v31, v14, v31
	s_delay_alu instid0(VALU_DEP_4)
	v_add3_u32 v21, 0, v21, v42
	v_mul_f32_e32 v42, v3, v27
	v_mul_f32_e32 v27, v2, v27
	v_fma_f32 v14, v14, v30, -v47
	v_mul_f32_e32 v33, v23, v33
	v_mul_f32_e32 v39, v10, v39
	v_fma_f32 v2, v2, v26, -v42
	v_fma_f32 v23, v23, v32, -v43
	v_mul_f32_e32 v41, v12, v41
	v_fma_f32 v12, v12, v40, -v45
	v_fma_f32 v10, v10, v38, -v49
	v_fmac_f32_e32 v33, v24, v32
	v_fmac_f32_e32 v27, v3, v26
	v_mul_f32_e32 v35, v6, v35
	v_fma_f32 v6, v6, v34, -v44
	v_mul_f32_e32 v37, v8, v37
	v_fma_f32 v8, v8, v36, -v48
	v_fmac_f32_e32 v39, v11, v38
	v_add_f32_e32 v26, v27, v33
	v_sub_f32_e32 v27, v27, v33
	v_fmac_f32_e32 v31, v15, v30
	v_sub_f32_e32 v11, v8, v10
	v_fmac_f32_e32 v35, v7, v34
	v_sub_f32_e32 v7, v6, v12
	v_add_f32_e32 v6, v6, v12
	v_dual_add_f32 v12, v2, v23 :: v_dual_fmac_f32 v41, v13, v40
	v_dual_mul_f32 v40, 0xbf248dbb, v11 :: v_dual_fmac_f32 v37, v9, v36
	v_mul_f32_e32 v29, v4, v29
	v_fma_f32 v4, v4, v28, -v46
	s_delay_alu instid0(VALU_DEP_1)
	v_sub_f32_e32 v9, v4, v14
	v_add_f32_e32 v14, v4, v14
	v_mul_f32_e32 v4, 0x3f7c1c5c, v11
	v_sub_f32_e32 v30, v37, v39
	v_fmac_f32_e32 v29, v5, v28
	v_dual_sub_f32 v5, v2, v23 :: v_dual_add_f32 v2, v0, v6
	s_delay_alu instid0(VALU_DEP_3) | instskip(SKIP_1) | instid1(VALU_DEP_3)
	v_mul_f32_e32 v32, 0x3f7c1c5c, v30
	v_add_f32_e32 v38, v30, v27
	v_mul_f32_e32 v44, 0x3f248dbb, v5
	v_fmac_f32_e32 v40, 0x3f7c1c5c, v5
	v_dual_add_f32 v36, v11, v5 :: v_dual_add_f32 v15, v29, v31
	v_dual_sub_f32 v29, v29, v31 :: v_dual_mul_f32 v42, 0xbf248dbb, v30
	s_delay_alu instid0(VALU_DEP_3) | instskip(NEXT) | instid1(VALU_DEP_2)
	v_fmac_f32_e32 v40, 0xbf5db3d7, v7
	v_sub_f32_e32 v38, v38, v29
	v_fmac_f32_e32 v44, 0x3f7c1c5c, v9
	v_fma_f32 v46, 0xbf248dbb, v9, -v4
	v_sub_f32_e32 v36, v36, v9
	v_add_f32_e32 v34, v15, v26
	v_add_f32_e32 v24, v35, v41
	v_dual_sub_f32 v28, v35, v41 :: v_dual_add_f32 v35, v14, v12
	v_fmac_f32_e32 v46, 0x3f5db3d7, v7
	s_delay_alu instid0(VALU_DEP_3) | instskip(SKIP_1) | instid1(VALU_DEP_4)
	v_dual_add_f32 v13, v37, v39 :: v_dual_add_f32 v4, v24, v34
	v_fma_f32 v32, 0xbf248dbb, v29, -v32
	v_add_f32_e32 v47, v6, v35
	v_fmamk_f32 v23, v15, 0x3f441b7d, v1
	v_add_f32_e32 v3, v1, v24
	v_add_f32_e32 v34, v13, v34
	v_dual_add_f32 v31, v8, v10 :: v_dual_fmac_f32 v42, 0x3f7c1c5c, v27
	v_fmac_f32_e32 v32, 0x3f5db3d7, v28
	v_dual_fmamk_f32 v33, v14, 0x3f441b7d, v0 :: v_dual_add_f32 v8, v8, v47
	v_dual_add_f32 v4, v37, v4 :: v_dual_mul_f32 v45, 0x3f248dbb, v27
	v_dual_mul_f32 v37, 0x3f5db3d7, v36 :: v_dual_fmac_f32 v44, 0x3f5db3d7, v7
	v_dual_fmac_f32 v3, -0.5, v34 :: v_dual_fmac_f32 v46, 0x3eaf1d44, v5
	s_delay_alu instid0(VALU_DEP_4) | instskip(SKIP_4) | instid1(VALU_DEP_3)
	v_add_f32_e32 v7, v10, v8
	v_fmamk_f32 v43, v31, 0x3f441b7d, v0
	v_add_f32_e32 v4, v39, v4
	v_dual_add_f32 v35, v31, v35 :: v_dual_fmac_f32 v42, 0xbf5db3d7, v28
	v_fmamk_f32 v41, v13, 0x3f441b7d, v1
	v_dual_fmac_f32 v32, 0x3eaf1d44, v27 :: v_dual_add_f32 v5, v1, v4
	v_add_f32_e32 v4, v0, v7
	s_delay_alu instid0(VALU_DEP_4) | instskip(SKIP_3) | instid1(VALU_DEP_3)
	v_fmac_f32_e32 v42, 0x3eaf1d44, v29
	v_fmac_f32_e32 v43, 0x3e31d0d4, v12
	;; [unrolled: 1-line block ×3, first 2 shown]
	v_dual_fmac_f32 v23, 0x3e31d0d4, v13 :: v_dual_fmac_f32 v2, -0.5, v35
	v_dual_fmac_f32 v40, 0x3eaf1d44, v9 :: v_dual_fmac_f32 v43, -0.5, v6
	s_delay_alu instid0(VALU_DEP_3) | instskip(NEXT) | instid1(VALU_DEP_3)
	v_dual_fmac_f32 v0, 0x3e31d0d4, v14 :: v_dual_fmac_f32 v33, 0x3e31d0d4, v31
	v_dual_fmac_f32 v23, -0.5, v24 :: v_dual_fmac_f32 v2, 0x3f5db3d7, v38
	s_delay_alu instid0(VALU_DEP_3) | instskip(NEXT) | instid1(VALU_DEP_3)
	v_fmac_f32_e32 v43, 0xbf708fb2, v14
	v_dual_fmac_f32 v45, 0x3f7c1c5c, v29 :: v_dual_fmac_f32 v0, -0.5, v6
	s_delay_alu instid0(VALU_DEP_4) | instskip(NEXT) | instid1(VALU_DEP_3)
	v_fmac_f32_e32 v33, -0.5, v6
	v_dual_fmac_f32 v23, 0xbf708fb2, v26 :: v_dual_add_f32 v10, v42, v43
	s_delay_alu instid0(VALU_DEP_3) | instskip(NEXT) | instid1(VALU_DEP_4)
	v_fmac_f32_e32 v45, 0x3f5db3d7, v28
	v_fmac_f32_e32 v0, 0xbf708fb2, v31
	;; [unrolled: 1-line block ×7, first 2 shown]
	s_delay_alu instid0(VALU_DEP_4) | instskip(NEXT) | instid1(VALU_DEP_4)
	v_dual_sub_f32 v7, v23, v46 :: v_dual_add_f32 v6, v32, v33
	v_fmac_f32_e32 v41, -0.5, v24
	s_delay_alu instid0(VALU_DEP_3) | instskip(SKIP_2) | instid1(VALU_DEP_4)
	v_dual_add_f32 v0, v45, v0 :: v_dual_fmac_f32 v1, 0x3e31d0d4, v15
	v_mul_f32_e32 v34, 0x3f5db3d7, v38
	v_fmac_f32_e32 v3, 0xbf5db3d7, v36
	v_fmac_f32_e32 v41, 0xbf708fb2, v15
	v_fma_f32 v12, -2.0, v32, v6
	v_fmac_f32_e32 v1, -0.5, v24
	v_fma_f32 v8, -2.0, v34, v2
	v_fma_f32 v9, 2.0, v37, v3
	v_sub_f32_e32 v11, v41, v40
	v_fma_f32 v14, -2.0, v42, v10
	v_fmac_f32_e32 v1, 0xbf708fb2, v13
	v_fma_f32 v13, 2.0, v46, v7
	v_fma_f32 v23, -2.0, v45, v0
	v_fma_f32 v15, 2.0, v40, v11
	s_delay_alu instid0(VALU_DEP_4) | instskip(NEXT) | instid1(VALU_DEP_1)
	v_sub_f32_e32 v1, v1, v44
	v_fma_f32 v24, 2.0, v44, v1
	ds_store_2addr_b64 v21, v[4:5], v[0:1] offset1:7
	ds_store_2addr_b64 v21, v[10:11], v[2:3] offset0:14 offset1:21
	ds_store_2addr_b64 v21, v[6:7], v[12:13] offset0:28 offset1:35
	;; [unrolled: 1-line block ×3, first 2 shown]
	ds_store_b64 v21, v[23:24] offset:448
.LBB0_19:
	s_wait_alu 0xfffe
	s_or_b32 exec_lo, exec_lo, s1
	v_mul_u32_u24_e32 v0, 3, v20
	global_wb scope:SCOPE_SE
	s_wait_dscnt 0x0
	s_barrier_signal -1
	s_barrier_wait -1
	global_inv scope:SCOPE_SE
	v_dual_mov_b32 v21, 0 :: v_dual_lshlrev_b32 v4, 3, v0
	v_add_nc_u32_e32 v24, 0x800, v25
	v_lshl_add_u32 v34, v22, 3, 0
	s_clause 0x1
	global_load_b128 v[0:3], v4, s[8:9] offset:448
	global_load_b64 v[26:27], v4, s[8:9] offset:464
	ds_load_2addr_b64 v[4:7], v25 offset1:126
	ds_load_2addr_b64 v[8:11], v25 offset0:189 offset1:252
	ds_load_2addr_b64 v[12:15], v24 offset0:59 offset1:122
	v_add_nc_u32_e32 v23, 0xc00, v25
	v_add_nc_u32_e32 v35, 0x400, v25
	v_lshlrev_b64_e32 v[32:33], 3, v[20:21]
	s_delay_alu instid0(VALU_DEP_1) | instskip(SKIP_1) | instid1(VALU_DEP_2)
	v_add_co_u32 v32, s0, s8, v32
	s_wait_alu 0xf1ff
	v_add_co_ci_u32_e64 v33, s0, s9, v33, s0
	s_wait_loadcnt_dscnt 0x101
	v_mul_f32_e32 v38, v3, v11
	v_mul_f32_e32 v36, v1, v7
	ds_load_b64 v[28:29], v34
	ds_load_2addr_b32 v[30:31], v23 offset0:114 offset1:115
	s_wait_loadcnt_dscnt 0x2
	v_dual_mul_f32 v37, v1, v6 :: v_dual_mul_f32 v40, v27, v15
	v_dual_mul_f32 v39, v3, v10 :: v_dual_mul_f32 v42, v1, v9
	v_mul_f32_e32 v43, v1, v8
	v_fma_f32 v6, v0, v6, -v36
	s_delay_alu instid0(VALU_DEP_4)
	v_fmac_f32_e32 v37, v0, v7
	v_fma_f32 v7, v2, v10, -v38
	v_fma_f32 v10, v26, v14, -v40
	v_mul_f32_e32 v1, v3, v13
	v_mul_f32_e32 v3, v3, v12
	v_fmac_f32_e32 v39, v2, v11
	v_fma_f32 v8, v0, v8, -v42
	v_sub_f32_e32 v7, v4, v7
	v_mov_b32_e32 v23, v21
	v_fmac_f32_e32 v3, v2, v13
	v_mul_f32_e32 v41, v27, v14
	global_wb scope:SCOPE_SE
	s_wait_dscnt 0x0
	v_fma_f32 v14, v4, 2.0, -v7
	v_dual_mul_f32 v44, v31, v27 :: v_dual_fmac_f32 v43, v0, v9
	v_fma_f32 v0, v2, v12, -v1
	v_sub_f32_e32 v2, v6, v10
	v_sub_f32_e32 v12, v29, v3
	s_delay_alu instid0(VALU_DEP_4)
	v_fma_f32 v1, v26, v30, -v44
	v_fmac_f32_e32 v41, v26, v15
	v_sub_f32_e32 v11, v28, v0
	v_fma_f32 v4, v6, 2.0, -v2
	v_mul_f32_e32 v27, v27, v30
	v_sub_f32_e32 v3, v8, v1
	v_sub_f32_e32 v9, v5, v39
	;; [unrolled: 1-line block ×3, first 2 shown]
	s_delay_alu instid0(VALU_DEP_4)
	v_dual_sub_f32 v4, v14, v4 :: v_dual_fmac_f32 v27, v31, v26
	v_fma_f32 v26, v28, 2.0, -v11
	v_fma_f32 v8, v8, 2.0, -v3
	;; [unrolled: 1-line block ×3, first 2 shown]
	v_sub_f32_e32 v0, v7, v10
	v_fma_f32 v5, v37, 2.0, -v10
	v_lshlrev_b64_e32 v[22:23], 3, v[22:23]
	v_dual_sub_f32 v8, v26, v8 :: v_dual_sub_f32 v13, v43, v27
	v_add_f32_e32 v1, v9, v2
	v_fma_f32 v27, v29, 2.0, -v12
	v_add_f32_e32 v3, v12, v3
	v_sub_f32_e32 v5, v15, v5
	v_fma_f32 v10, v43, 2.0, -v13
	v_sub_f32_e32 v2, v11, v13
	v_fma_f32 v6, v7, 2.0, -v0
	v_fma_f32 v7, v9, 2.0, -v1
	v_add_co_u32 v22, s0, s8, v22
	v_sub_f32_e32 v9, v27, v10
	s_wait_alu 0xf1ff
	v_add_co_ci_u32_e64 v23, s0, s9, v23, s0
	v_fma_f32 v10, v11, 2.0, -v2
	v_fma_f32 v11, v12, 2.0, -v3
	;; [unrolled: 1-line block ×6, first 2 shown]
	s_barrier_signal -1
	s_barrier_wait -1
	global_inv scope:SCOPE_SE
	ds_store_2addr_b64 v25, v[4:5], v[0:1] offset0:126 offset1:189
	ds_store_2addr_b64 v24, v[8:9], v[2:3] offset0:122 offset1:185
	ds_store_2addr_b64 v25, v[12:13], v[6:7] offset1:63
	ds_store_2addr_b64 v35, v[14:15], v[10:11] offset0:124 offset1:187
	global_wb scope:SCOPE_SE
	s_wait_dscnt 0x0
	s_barrier_signal -1
	s_barrier_wait -1
	global_inv scope:SCOPE_SE
	s_clause 0x3
	global_load_b64 v[12:13], v[32:33], off offset:1960
	global_load_b64 v[14:15], v[22:23], off offset:1960
	global_load_b64 v[22:23], v[32:33], off offset:2968
	global_load_b64 v[26:27], v[32:33], off offset:3472
	ds_load_2addr_b64 v[0:3], v25 offset0:189 offset1:252
	ds_load_2addr_b64 v[4:7], v24 offset0:59 offset1:122
	ds_load_b64 v[28:29], v25 offset:3528
	ds_load_b64 v[30:31], v34
	ds_load_2addr_b64 v[8:11], v25 offset1:126
	global_wb scope:SCOPE_SE
	s_wait_loadcnt_dscnt 0x0
	s_barrier_signal -1
	s_barrier_wait -1
	global_inv scope:SCOPE_SE
	v_mul_f32_e32 v32, v13, v3
	v_mul_f32_e32 v13, v13, v2
	;; [unrolled: 1-line block ×8, first 2 shown]
	v_fma_f32 v2, v12, v2, -v32
	v_fmac_f32_e32 v13, v12, v3
	v_fma_f32 v4, v14, v4, -v33
	v_fmac_f32_e32 v15, v14, v5
	;; [unrolled: 2-line block ×3, first 2 shown]
	v_fma_f32 v12, v26, v28, -v36
	v_dual_fmac_f32 v27, v26, v29 :: v_dual_sub_f32 v2, v8, v2
	v_dual_sub_f32 v3, v9, v13 :: v_dual_sub_f32 v4, v30, v4
	s_delay_alu instid0(VALU_DEP_3) | instskip(SKIP_1) | instid1(VALU_DEP_4)
	v_dual_sub_f32 v12, v0, v12 :: v_dual_sub_f32 v5, v31, v15
	v_dual_sub_f32 v6, v10, v6 :: v_dual_sub_f32 v7, v11, v23
	v_sub_f32_e32 v13, v1, v27
	v_fma_f32 v8, v8, 2.0, -v2
	v_fma_f32 v9, v9, 2.0, -v3
	;; [unrolled: 1-line block ×8, first 2 shown]
	ds_store_b64 v25, v[8:9]
	ds_store_b64 v25, v[2:3] offset:2016
	ds_store_2addr_b64 v34, v[14:15], v[4:5] offset1:252
	ds_store_2addr_b64 v25, v[10:11], v[0:1] offset0:126 offset1:189
	ds_store_2addr_b64 v24, v[6:7], v[12:13] offset0:122 offset1:185
	global_wb scope:SCOPE_SE
	s_wait_dscnt 0x0
	s_barrier_signal -1
	s_barrier_wait -1
	global_inv scope:SCOPE_SE
	s_and_saveexec_b32 s0, vcc_lo
	s_cbranch_execz .LBB0_21
; %bb.20:
	v_mul_lo_u32 v2, s3, v18
	v_mul_lo_u32 v3, s2, v19
	v_mad_co_u64_u32 v[0:1], null, s2, v18, 0
	v_lshlrev_b64_e32 v[4:5], 3, v[16:17]
	v_dual_mov_b32 v9, v21 :: v_dual_add_nc_u32 v8, 63, v20
	v_lshlrev_b64_e32 v[6:7], 3, v[20:21]
	v_dual_mov_b32 v13, v21 :: v_dual_add_nc_u32 v12, 0x7e, v20
	v_add3_u32 v1, v1, v3, v2
	s_delay_alu instid0(VALU_DEP_4)
	v_lshlrev_b64_e32 v[8:9], 3, v[8:9]
	v_lshl_add_u32 v30, v20, 3, 0
	v_add_nc_u32_e32 v14, 0x13b, v20
	v_add_nc_u32_e32 v28, 0x17a, v20
	v_lshlrev_b64_e32 v[10:11], 3, v[0:1]
	v_mov_b32_e32 v15, v21
	ds_load_2addr_b64 v[0:3], v30 offset1:63
	v_mov_b32_e32 v29, v21
	v_add_co_u32 v10, vcc_lo, s6, v10
	s_wait_alu 0xfffd
	v_add_co_ci_u32_e32 v11, vcc_lo, s7, v11, vcc_lo
	v_lshlrev_b64_e32 v[26:27], 3, v[14:15]
	s_delay_alu instid0(VALU_DEP_3) | instskip(SKIP_1) | instid1(VALU_DEP_3)
	v_add_co_u32 v32, vcc_lo, v10, v4
	s_wait_alu 0xfffd
	v_add_co_ci_u32_e32 v33, vcc_lo, v11, v5, vcc_lo
	v_lshlrev_b64_e32 v[10:11], 3, v[12:13]
	s_delay_alu instid0(VALU_DEP_3) | instskip(SKIP_1) | instid1(VALU_DEP_3)
	v_add_co_u32 v16, vcc_lo, v32, v6
	s_wait_alu 0xfffd
	v_add_co_ci_u32_e32 v17, vcc_lo, v33, v7, vcc_lo
	v_add_co_u32 v18, vcc_lo, v32, v8
	s_wait_alu 0xfffd
	v_add_co_ci_u32_e32 v19, vcc_lo, v33, v9, vcc_lo
	v_dual_mov_b32 v9, v21 :: v_dual_add_nc_u32 v8, 0xbd, v20
	v_add_nc_u32_e32 v12, 0xfc, v20
	v_add_co_u32 v22, vcc_lo, v32, v10
	v_add_nc_u32_e32 v10, 0x400, v30
	s_delay_alu instid0(VALU_DEP_4) | instskip(NEXT) | instid1(VALU_DEP_4)
	v_lshlrev_b64_e32 v[8:9], 3, v[8:9]
	v_lshlrev_b64_e32 v[12:13], 3, v[12:13]
	s_wait_alu 0xfffd
	v_add_co_ci_u32_e32 v23, vcc_lo, v33, v11, vcc_lo
	v_add_nc_u32_e32 v14, 0x800, v30
	ds_load_2addr_b64 v[4:7], v30 offset0:126 offset1:189
	v_add_co_u32 v24, vcc_lo, v32, v8
	s_wait_alu 0xfffd
	v_add_co_ci_u32_e32 v25, vcc_lo, v33, v9, vcc_lo
	ds_load_2addr_b64 v[8:11], v10 offset0:124 offset1:187
	v_add_co_u32 v30, vcc_lo, v32, v12
	s_wait_alu 0xfffd
	v_add_co_ci_u32_e32 v31, vcc_lo, v33, v13, vcc_lo
	ds_load_2addr_b64 v[12:15], v14 offset0:122 offset1:185
	v_add_nc_u32_e32 v20, 0x1b9, v20
	v_lshlrev_b64_e32 v[28:29], 3, v[28:29]
	v_add_co_u32 v26, vcc_lo, v32, v26
	s_wait_alu 0xfffd
	v_add_co_ci_u32_e32 v27, vcc_lo, v33, v27, vcc_lo
	v_lshlrev_b64_e32 v[20:21], 3, v[20:21]
	s_delay_alu instid0(VALU_DEP_4) | instskip(SKIP_2) | instid1(VALU_DEP_3)
	v_add_co_u32 v28, vcc_lo, v32, v28
	s_wait_alu 0xfffd
	v_add_co_ci_u32_e32 v29, vcc_lo, v33, v29, vcc_lo
	v_add_co_u32 v20, vcc_lo, v32, v20
	s_wait_alu 0xfffd
	v_add_co_ci_u32_e32 v21, vcc_lo, v33, v21, vcc_lo
	s_wait_dscnt 0x3
	s_clause 0x1
	global_store_b64 v[16:17], v[0:1], off
	global_store_b64 v[18:19], v[2:3], off
	s_wait_dscnt 0x2
	s_clause 0x1
	global_store_b64 v[22:23], v[4:5], off
	global_store_b64 v[24:25], v[6:7], off
	;; [unrolled: 4-line block ×4, first 2 shown]
.LBB0_21:
	s_nop 0
	s_sendmsg sendmsg(MSG_DEALLOC_VGPRS)
	s_endpgm
	.section	.rodata,"a",@progbits
	.p2align	6, 0x0
	.amdhsa_kernel fft_rtc_fwd_len504_factors_7_9_4_2_wgs_63_tpt_63_sp_op_CI_CI_unitstride_sbrr_dirReg
		.amdhsa_group_segment_fixed_size 0
		.amdhsa_private_segment_fixed_size 0
		.amdhsa_kernarg_size 104
		.amdhsa_user_sgpr_count 2
		.amdhsa_user_sgpr_dispatch_ptr 0
		.amdhsa_user_sgpr_queue_ptr 0
		.amdhsa_user_sgpr_kernarg_segment_ptr 1
		.amdhsa_user_sgpr_dispatch_id 0
		.amdhsa_user_sgpr_private_segment_size 0
		.amdhsa_wavefront_size32 1
		.amdhsa_uses_dynamic_stack 0
		.amdhsa_enable_private_segment 0
		.amdhsa_system_sgpr_workgroup_id_x 1
		.amdhsa_system_sgpr_workgroup_id_y 0
		.amdhsa_system_sgpr_workgroup_id_z 0
		.amdhsa_system_sgpr_workgroup_info 0
		.amdhsa_system_vgpr_workitem_id 0
		.amdhsa_next_free_vgpr 55
		.amdhsa_next_free_sgpr 39
		.amdhsa_reserve_vcc 1
		.amdhsa_float_round_mode_32 0
		.amdhsa_float_round_mode_16_64 0
		.amdhsa_float_denorm_mode_32 3
		.amdhsa_float_denorm_mode_16_64 3
		.amdhsa_fp16_overflow 0
		.amdhsa_workgroup_processor_mode 1
		.amdhsa_memory_ordered 1
		.amdhsa_forward_progress 0
		.amdhsa_round_robin_scheduling 0
		.amdhsa_exception_fp_ieee_invalid_op 0
		.amdhsa_exception_fp_denorm_src 0
		.amdhsa_exception_fp_ieee_div_zero 0
		.amdhsa_exception_fp_ieee_overflow 0
		.amdhsa_exception_fp_ieee_underflow 0
		.amdhsa_exception_fp_ieee_inexact 0
		.amdhsa_exception_int_div_zero 0
	.end_amdhsa_kernel
	.text
.Lfunc_end0:
	.size	fft_rtc_fwd_len504_factors_7_9_4_2_wgs_63_tpt_63_sp_op_CI_CI_unitstride_sbrr_dirReg, .Lfunc_end0-fft_rtc_fwd_len504_factors_7_9_4_2_wgs_63_tpt_63_sp_op_CI_CI_unitstride_sbrr_dirReg
                                        ; -- End function
	.section	.AMDGPU.csdata,"",@progbits
; Kernel info:
; codeLenInByte = 5696
; NumSgprs: 41
; NumVgprs: 55
; ScratchSize: 0
; MemoryBound: 0
; FloatMode: 240
; IeeeMode: 1
; LDSByteSize: 0 bytes/workgroup (compile time only)
; SGPRBlocks: 5
; VGPRBlocks: 6
; NumSGPRsForWavesPerEU: 41
; NumVGPRsForWavesPerEU: 55
; Occupancy: 16
; WaveLimiterHint : 1
; COMPUTE_PGM_RSRC2:SCRATCH_EN: 0
; COMPUTE_PGM_RSRC2:USER_SGPR: 2
; COMPUTE_PGM_RSRC2:TRAP_HANDLER: 0
; COMPUTE_PGM_RSRC2:TGID_X_EN: 1
; COMPUTE_PGM_RSRC2:TGID_Y_EN: 0
; COMPUTE_PGM_RSRC2:TGID_Z_EN: 0
; COMPUTE_PGM_RSRC2:TIDIG_COMP_CNT: 0
	.text
	.p2alignl 7, 3214868480
	.fill 96, 4, 3214868480
	.type	__hip_cuid_9786f650ebf67df1,@object ; @__hip_cuid_9786f650ebf67df1
	.section	.bss,"aw",@nobits
	.globl	__hip_cuid_9786f650ebf67df1
__hip_cuid_9786f650ebf67df1:
	.byte	0                               ; 0x0
	.size	__hip_cuid_9786f650ebf67df1, 1

	.ident	"AMD clang version 19.0.0git (https://github.com/RadeonOpenCompute/llvm-project roc-6.4.0 25133 c7fe45cf4b819c5991fe208aaa96edf142730f1d)"
	.section	".note.GNU-stack","",@progbits
	.addrsig
	.addrsig_sym __hip_cuid_9786f650ebf67df1
	.amdgpu_metadata
---
amdhsa.kernels:
  - .args:
      - .actual_access:  read_only
        .address_space:  global
        .offset:         0
        .size:           8
        .value_kind:     global_buffer
      - .offset:         8
        .size:           8
        .value_kind:     by_value
      - .actual_access:  read_only
        .address_space:  global
        .offset:         16
        .size:           8
        .value_kind:     global_buffer
      - .actual_access:  read_only
        .address_space:  global
        .offset:         24
        .size:           8
        .value_kind:     global_buffer
      - .actual_access:  read_only
        .address_space:  global
        .offset:         32
        .size:           8
        .value_kind:     global_buffer
      - .offset:         40
        .size:           8
        .value_kind:     by_value
      - .actual_access:  read_only
        .address_space:  global
        .offset:         48
        .size:           8
        .value_kind:     global_buffer
      - .actual_access:  read_only
        .address_space:  global
        .offset:         56
        .size:           8
        .value_kind:     global_buffer
      - .offset:         64
        .size:           4
        .value_kind:     by_value
      - .actual_access:  read_only
        .address_space:  global
        .offset:         72
        .size:           8
        .value_kind:     global_buffer
      - .actual_access:  read_only
        .address_space:  global
        .offset:         80
        .size:           8
        .value_kind:     global_buffer
      - .actual_access:  read_only
        .address_space:  global
        .offset:         88
        .size:           8
        .value_kind:     global_buffer
      - .actual_access:  write_only
        .address_space:  global
        .offset:         96
        .size:           8
        .value_kind:     global_buffer
    .group_segment_fixed_size: 0
    .kernarg_segment_align: 8
    .kernarg_segment_size: 104
    .language:       OpenCL C
    .language_version:
      - 2
      - 0
    .max_flat_workgroup_size: 63
    .name:           fft_rtc_fwd_len504_factors_7_9_4_2_wgs_63_tpt_63_sp_op_CI_CI_unitstride_sbrr_dirReg
    .private_segment_fixed_size: 0
    .sgpr_count:     41
    .sgpr_spill_count: 0
    .symbol:         fft_rtc_fwd_len504_factors_7_9_4_2_wgs_63_tpt_63_sp_op_CI_CI_unitstride_sbrr_dirReg.kd
    .uniform_work_group_size: 1
    .uses_dynamic_stack: false
    .vgpr_count:     55
    .vgpr_spill_count: 0
    .wavefront_size: 32
    .workgroup_processor_mode: 1
amdhsa.target:   amdgcn-amd-amdhsa--gfx1201
amdhsa.version:
  - 1
  - 2
...

	.end_amdgpu_metadata
